;; amdgpu-corpus repo=ROCm/rocFFT kind=compiled arch=gfx950 opt=O3
	.text
	.amdgcn_target "amdgcn-amd-amdhsa--gfx950"
	.amdhsa_code_object_version 6
	.protected	bluestein_single_fwd_len60_dim1_sp_op_CI_CI ; -- Begin function bluestein_single_fwd_len60_dim1_sp_op_CI_CI
	.globl	bluestein_single_fwd_len60_dim1_sp_op_CI_CI
	.p2align	8
	.type	bluestein_single_fwd_len60_dim1_sp_op_CI_CI,@function
bluestein_single_fwd_len60_dim1_sp_op_CI_CI: ; @bluestein_single_fwd_len60_dim1_sp_op_CI_CI
; %bb.0:
	s_load_dwordx4 s[16:19], s[0:1], 0x28
	v_mul_u32_u24_e32 v1, 0x199a, v0
	v_lshrrev_b32_e32 v2, 16, v1
	v_mad_u64_u32 v[44:45], s[2:3], s2, 6, v[2:3]
	v_mov_b32_e32 v37, 0
	v_mov_b32_e32 v45, v37
	s_waitcnt lgkmcnt(0)
	v_cmp_gt_u64_e32 vcc, s[16:17], v[44:45]
	s_and_saveexec_b64 s[2:3], vcc
	s_cbranch_execz .LBB0_10
; %bb.1:
	s_load_dwordx4 s[8:11], s[0:1], 0x18
	s_load_dwordx4 s[4:7], s[0:1], 0x0
	v_mul_lo_u16_e32 v1, 10, v2
	v_sub_u16_e32 v45, v0, v1
	v_mov_b32_e32 v4, s18
	s_waitcnt lgkmcnt(0)
	s_load_dwordx4 s[12:15], s[8:9], 0x0
	v_mov_b32_e32 v5, s19
	v_mov_b32_e32 v12, 0x50
	v_lshlrev_b32_e32 v36, 3, v45
	v_cmp_gt_u16_e32 vcc, 6, v45
	s_waitcnt lgkmcnt(0)
	v_mad_u64_u32 v[0:1], s[2:3], s14, v44, 0
	v_mov_b32_e32 v2, v1
	v_mad_u64_u32 v[2:3], s[2:3], s15, v44, v[2:3]
	v_mov_b32_e32 v1, v2
	;; [unrolled: 2-line block ×4, first 2 shown]
	v_lshl_add_u64 v[0:1], v[0:1], 3, v[4:5]
	v_lshl_add_u64 v[0:1], v[2:3], 3, v[0:1]
	global_load_dwordx2 v[2:3], v[0:1], off
	v_mad_u64_u32 v[0:1], s[2:3], s12, v12, v[0:1]
	s_mul_i32 s8, s13, 0x50
	v_add_u32_e32 v1, s8, v1
	v_mad_u64_u32 v[4:5], s[2:3], s12, v12, v[0:1]
	v_add_u32_e32 v5, s8, v5
	global_load_dwordx2 v[50:51], v36, s[4:5]
	global_load_dwordx2 v[48:49], v36, s[4:5] offset:80
	global_load_dwordx2 v[6:7], v[4:5], off
	v_mad_u64_u32 v[4:5], s[2:3], s12, v12, v[4:5]
	global_load_dwordx2 v[0:1], v[0:1], off
	v_add_u32_e32 v5, s8, v5
	global_load_dwordx2 v[46:47], v36, s[4:5] offset:160
	global_load_dwordx2 v[38:39], v36, s[4:5] offset:240
	global_load_dwordx2 v[8:9], v[4:5], off
	v_mad_u64_u32 v[4:5], s[2:3], s12, v12, v[4:5]
	v_add_u32_e32 v5, s8, v5
	global_load_dwordx2 v[10:11], v[4:5], off
	global_load_dwordx2 v[42:43], v36, s[4:5] offset:320
	v_mad_u64_u32 v[4:5], s[2:3], s12, v12, v[4:5]
	v_add_u32_e32 v5, s8, v5
	global_load_dwordx2 v[40:41], v36, s[4:5] offset:400
	global_load_dwordx2 v[12:13], v[4:5], off
	s_load_dwordx2 s[8:9], s[0:1], 0x38
	s_mov_b32 s0, 0xaaaaaaab
	v_mul_hi_u32 v4, v44, s0
	v_lshrrev_b32_e32 v4, 2, v4
	v_mul_lo_u32 v4, v4, 6
	v_sub_u32_e32 v4, v44, v4
	v_mul_u32_u24_e32 v4, 60, v4
	v_lshlrev_b32_e32 v82, 3, v4
	v_add_u32_e32 v80, v36, v82
	s_load_dwordx4 s[0:3], s[10:11], 0x0
	s_mov_b32 s10, 0x3f5db3d7
	s_mov_b32 s12, 0.5
	s_mov_b32 s13, s10
                                        ; implicit-def: $vgpr28
                                        ; implicit-def: $vgpr54
                                        ; implicit-def: $vgpr56
                                        ; implicit-def: $vgpr32
                                        ; implicit-def: $vgpr58
                                        ; implicit-def: $vgpr60
	s_waitcnt vmcnt(10)
	v_mul_f32_e32 v4, v3, v51
	v_mul_f32_e32 v5, v2, v51
	v_fmac_f32_e32 v4, v2, v50
	v_fma_f32 v5, v3, v50, -v5
	s_waitcnt vmcnt(7)
	v_mul_f32_e32 v2, v1, v49
	v_mul_f32_e32 v3, v0, v49
	v_fmac_f32_e32 v2, v0, v48
	v_fma_f32 v3, v1, v48, -v3
	ds_write2_b64 v80, v[4:5], v[2:3] offset1:10
	s_waitcnt vmcnt(6)
	v_mul_f32_e32 v0, v7, v47
	v_mul_f32_e32 v1, v6, v47
	s_waitcnt vmcnt(4)
	v_mul_f32_e32 v2, v9, v39
	v_mul_f32_e32 v3, v8, v39
	v_fmac_f32_e32 v0, v6, v46
	v_fma_f32 v1, v7, v46, -v1
	v_fmac_f32_e32 v2, v8, v38
	v_fma_f32 v3, v9, v38, -v3
	ds_write2_b64 v80, v[0:1], v[2:3] offset0:20 offset1:30
	s_waitcnt vmcnt(2)
	v_mul_f32_e32 v0, v11, v43
	v_mul_f32_e32 v1, v10, v43
	s_waitcnt vmcnt(0)
	v_mul_f32_e32 v2, v13, v41
	v_mul_f32_e32 v3, v12, v41
	v_fmac_f32_e32 v0, v10, v42
	v_fma_f32 v1, v11, v42, -v1
	v_fmac_f32_e32 v2, v12, v40
	v_fma_f32 v3, v13, v40, -v3
	ds_write2_b64 v80, v[0:1], v[2:3] offset0:40 offset1:50
	s_waitcnt lgkmcnt(0)
	; wave barrier
	s_waitcnt lgkmcnt(0)
	ds_read2_b64 v[0:3], v80 offset1:10
	ds_read2_b64 v[4:7], v80 offset0:20 offset1:30
	ds_read2_b64 v[8:11], v80 offset0:40 offset1:50
	s_waitcnt lgkmcnt(0)
	; wave barrier
	s_waitcnt lgkmcnt(0)
	v_pk_add_f32 v[12:13], v[0:1], v[4:5]
	v_pk_add_f32 v[16:17], v[4:5], v[8:9]
	v_pk_add_f32 v[4:5], v[4:5], v[8:9] neg_lo:[0,1] neg_hi:[0,1]
	v_pk_add_f32 v[18:19], v[6:7], v[10:11]
	v_pk_add_f32 v[14:15], v[2:3], v[6:7]
	v_pk_add_f32 v[6:7], v[6:7], v[10:11] neg_lo:[0,1] neg_hi:[0,1]
	v_pk_fma_f32 v[0:1], v[16:17], 0.5, v[0:1] op_sel_hi:[1,0,1] neg_lo:[1,0,0] neg_hi:[1,0,0]
	v_pk_mul_f32 v[4:5], v[4:5], s[10:11] op_sel_hi:[1,0]
	v_pk_fma_f32 v[2:3], v[18:19], 0.5, v[2:3] op_sel_hi:[1,0,1] neg_lo:[1,0,0] neg_hi:[1,0,0]
	v_pk_add_f32 v[8:9], v[12:13], v[8:9]
	v_pk_add_f32 v[12:13], v[0:1], v[4:5] op_sel:[0,1] op_sel_hi:[1,0]
	v_pk_add_f32 v[0:1], v[0:1], v[4:5] op_sel:[0,1] op_sel_hi:[1,0] neg_lo:[0,1] neg_hi:[0,1]
	v_pk_fma_f32 v[4:5], v[6:7], s[10:11], v[2:3] op_sel:[0,0,1] op_sel_hi:[1,0,0]
	v_pk_add_f32 v[10:11], v[14:15], v[10:11]
	v_pk_fma_f32 v[2:3], v[6:7], s[10:11], v[2:3] op_sel:[0,0,1] op_sel_hi:[1,0,0] neg_lo:[1,0,0] neg_hi:[1,0,0]
	v_mov_b32_e32 v14, v4
	v_pk_mul_f32 v[4:5], v[4:5], s[12:13] op_sel:[1,0]
	s_mov_b32 s11, s12
	v_mov_b32_e32 v6, v12
	v_mov_b32_e32 v7, v1
	;; [unrolled: 1-line block ×4, first 2 shown]
	v_pk_fma_f32 v[12:13], v[2:3], s[10:11], v[4:5]
	v_pk_fma_f32 v[2:3], v[2:3], s[10:11], v[4:5] op_sel_hi:[0,1,1] neg_lo:[0,0,1] neg_hi:[0,0,1]
	v_mov_b32_e32 v13, v3
	s_mov_b32 s11, 0xbf5db3d7
	v_pk_mul_f32 v[2:3], v[14:15], 0.5 op_sel_hi:[1,0]
	v_pk_add_f32 v[16:17], v[8:9], v[10:11]
	v_pk_fma_f32 v[2:3], v[14:15], s[10:11], v[2:3] op_sel:[0,0,1] op_sel_hi:[1,1,0] neg_lo:[0,0,1] neg_hi:[0,0,1]
	v_pk_add_f32 v[18:19], v[6:7], v[12:13]
	v_pk_add_f32 v[20:21], v[0:1], v[2:3]
	v_pk_add_f32 v[26:27], v[0:1], v[2:3] neg_lo:[0,1] neg_hi:[0,1]
	v_mul_lo_u16_e32 v0, 6, v45
	v_pk_add_f32 v[22:23], v[8:9], v[10:11] neg_lo:[0,1] neg_hi:[0,1]
	v_pk_add_f32 v[24:25], v[6:7], v[12:13] neg_lo:[0,1] neg_hi:[0,1]
	v_lshl_add_u32 v81, v0, 3, v82
	ds_write_b128 v81, v[16:19]
	ds_write_b128 v81, v[20:23] offset:16
	ds_write_b128 v81, v[24:27] offset:32
	s_waitcnt lgkmcnt(0)
	; wave barrier
	s_waitcnt lgkmcnt(0)
	s_and_saveexec_b64 s[10:11], vcc
	s_cbranch_execz .LBB0_3
; %bb.2:
	ds_read2_b64 v[28:31], v80 offset0:36 offset1:42
	ds_read2_b64 v[16:19], v80 offset1:6
	ds_read2_b64 v[32:35], v80 offset0:48 offset1:54
	ds_read2_b64 v[20:23], v80 offset0:12 offset1:18
	;; [unrolled: 1-line block ×3, first 2 shown]
	s_waitcnt lgkmcnt(4)
	v_mov_b32_e32 v54, v29
	v_mov_b32_e32 v56, v31
	s_waitcnt lgkmcnt(2)
	v_mov_b32_e32 v58, v33
	v_mov_b32_e32 v60, v35
.LBB0_3:
	s_or_b64 exec, exec, s[10:11]
	v_add_u32_e32 v0, -6, v45
	v_cndmask_b32_e32 v0, v0, v45, vcc
	v_mul_hi_i32_i24_e32 v1, 0x48, v0
	v_mul_i32_i24_e32 v0, 0x48, v0
	v_lshl_add_u64 v[62:63], s[6:7], 0, v[0:1]
	global_load_dwordx4 v[0:3], v[62:63], off
	global_load_dwordx4 v[8:11], v[62:63], off offset:16
	global_load_dwordx4 v[4:7], v[62:63], off offset:32
	;; [unrolled: 1-line block ×3, first 2 shown]
	global_load_dwordx2 v[52:53], v[62:63], off offset:64
	s_mov_b32 s10, 0x3f737871
	s_mov_b32 s6, 0x3f167918
	;; [unrolled: 1-line block ×6, first 2 shown]
	s_waitcnt vmcnt(4) lgkmcnt(1)
	v_pk_mul_f32 v[62:63], v[20:21], v[2:3] op_sel:[1,0]
	s_waitcnt vmcnt(3)
	v_pk_mul_f32 v[64:65], v[22:23], v[8:9] op_sel:[1,0]
	s_waitcnt lgkmcnt(0)
	v_pk_mul_f32 v[66:67], v[24:25], v[10:11] op_sel:[1,0]
	s_waitcnt vmcnt(2)
	v_pk_mul_f32 v[68:69], v[26:27], v[4:5] op_sel:[1,0]
	v_pk_mul_f32 v[54:55], v[54:55], v[6:7] op_sel_hi:[0,1]
	s_waitcnt vmcnt(1)
	v_pk_mul_f32 v[70:71], v[56:57], v[12:13] op_sel_hi:[0,1]
	s_waitcnt vmcnt(0)
	v_pk_mul_f32 v[74:75], v[60:61], v[52:53] op_sel_hi:[0,1]
	v_pk_mul_f32 v[72:73], v[58:59], v[14:15] op_sel_hi:[0,1]
	v_pk_mul_f32 v[76:77], v[18:19], v[0:1] op_sel:[1,0]
	v_pk_fma_f32 v[58:59], v[20:21], v[2:3], v[62:63] op_sel:[0,0,1] op_sel_hi:[1,1,0] neg_lo:[0,0,1] neg_hi:[0,0,1]
	v_pk_fma_f32 v[20:21], v[20:21], v[2:3], v[62:63] op_sel:[0,0,1] op_sel_hi:[0,1,0]
	v_pk_fma_f32 v[56:57], v[22:23], v[8:9], v[64:65] op_sel:[0,0,1] op_sel_hi:[1,1,0] neg_lo:[0,0,1] neg_hi:[0,0,1]
	v_pk_fma_f32 v[64:65], v[22:23], v[8:9], v[64:65] op_sel:[0,0,1] op_sel_hi:[0,1,0]
	v_pk_fma_f32 v[60:61], v[24:25], v[10:11], v[66:67] op_sel:[0,0,1] op_sel_hi:[1,1,0] neg_lo:[0,0,1] neg_hi:[0,0,1]
	v_pk_fma_f32 v[24:25], v[24:25], v[10:11], v[66:67] op_sel:[0,0,1] op_sel_hi:[0,1,0]
	v_pk_fma_f32 v[22:23], v[26:27], v[4:5], v[68:69] op_sel:[0,0,1] op_sel_hi:[1,1,0] neg_lo:[0,0,1] neg_hi:[0,0,1]
	v_pk_fma_f32 v[66:67], v[26:27], v[4:5], v[68:69] op_sel:[0,0,1] op_sel_hi:[0,1,0]
	v_pk_fma_f32 v[62:63], v[28:29], v[6:7], v[54:55] op_sel:[0,0,1] op_sel_hi:[1,1,0] neg_lo:[0,0,1] neg_hi:[0,0,1]
	v_pk_fma_f32 v[54:55], v[28:29], v[6:7], v[54:55] op_sel:[0,0,1] op_sel_hi:[0,1,0]
	v_pk_fma_f32 v[26:27], v[30:31], v[12:13], v[70:71] op_sel:[0,0,1] op_sel_hi:[1,1,0] neg_lo:[0,0,1] neg_hi:[0,0,1]
	v_pk_fma_f32 v[68:69], v[30:31], v[12:13], v[70:71] op_sel:[0,0,1] op_sel_hi:[0,1,0]
	v_pk_fma_f32 v[28:29], v[34:35], v[52:53], v[74:75] op_sel:[0,0,1] op_sel_hi:[1,1,0] neg_lo:[0,0,1] neg_hi:[0,0,1]
	v_pk_fma_f32 v[34:35], v[34:35], v[52:53], v[74:75] op_sel:[0,0,1] op_sel_hi:[0,1,0]
	v_pk_fma_f32 v[30:31], v[32:33], v[14:15], v[72:73] op_sel:[0,0,1] op_sel_hi:[1,1,0] neg_lo:[0,0,1] neg_hi:[0,0,1]
	v_pk_fma_f32 v[70:71], v[32:33], v[14:15], v[72:73] op_sel:[0,0,1] op_sel_hi:[0,1,0]
	v_pk_fma_f32 v[32:33], v[18:19], v[0:1], v[76:77] op_sel:[0,0,1] op_sel_hi:[1,1,0] neg_lo:[0,0,1] neg_hi:[0,0,1]
	v_pk_fma_f32 v[18:19], v[18:19], v[0:1], v[76:77] op_sel:[0,0,1] op_sel_hi:[0,1,0]
	v_mov_b32_e32 v57, v65
	v_mov_b32_e32 v23, v67
	;; [unrolled: 1-line block ×9, first 2 shown]
	v_pk_add_f32 v[54:55], v[56:57], v[22:23] neg_lo:[0,1] neg_hi:[0,1]
	v_pk_add_f32 v[64:65], v[28:29], v[26:27] neg_lo:[0,1] neg_hi:[0,1]
	v_pk_add_f32 v[78:79], v[22:23], v[26:27]
	v_pk_add_f32 v[18:19], v[60:61], v[62:63]
	v_pk_add_f32 v[24:25], v[58:59], v[60:61] neg_lo:[0,1] neg_hi:[0,1]
	v_pk_add_f32 v[34:35], v[30:31], v[62:63] neg_lo:[0,1] neg_hi:[0,1]
	v_pk_add_f32 v[66:67], v[58:59], v[30:31]
	v_pk_add_f32 v[86:87], v[56:57], v[28:29] neg_lo:[0,1] neg_hi:[0,1]
	v_pk_add_f32 v[54:55], v[54:55], v[64:65]
	v_pk_fma_f32 v[64:65], v[78:79], 0.5, v[32:33] op_sel_hi:[1,0,1] neg_lo:[1,0,0] neg_hi:[1,0,0]
	v_pk_add_f32 v[20:21], v[58:59], v[30:31] neg_lo:[0,1] neg_hi:[0,1]
	v_pk_add_f32 v[68:69], v[60:61], v[58:59] neg_lo:[0,1] neg_hi:[0,1]
	;; [unrolled: 1-line block ×7, first 2 shown]
	v_pk_add_f32 v[24:25], v[24:25], v[34:35]
	v_pk_fma_f32 v[18:19], v[18:19], 0.5, v[16:17] op_sel_hi:[1,0,1] neg_lo:[1,0,0] neg_hi:[1,0,0]
	v_pk_fma_f32 v[34:35], v[66:67], 0.5, v[16:17] op_sel_hi:[1,0,1] neg_lo:[1,0,0] neg_hi:[1,0,0]
	v_pk_fma_f32 v[78:79], v[86:87], s[10:11], v[64:65] op_sel:[1,0,0] op_sel_hi:[0,0,1]
	v_pk_fma_f32 v[64:65], v[86:87], s[10:11], v[64:65] op_sel:[1,0,0] op_sel_hi:[0,0,1] neg_lo:[1,0,0] neg_hi:[1,0,0]
	v_pk_add_f32 v[84:85], v[56:57], v[28:29]
	v_pk_add_f32 v[70:71], v[68:69], v[70:71]
	;; [unrolled: 1-line block ×3, first 2 shown]
	v_pk_fma_f32 v[68:69], v[20:21], s[10:11], v[18:19] op_sel:[1,0,0] op_sel_hi:[0,0,1]
	v_pk_fma_f32 v[18:19], v[20:21], s[10:11], v[18:19] op_sel:[1,0,0] op_sel_hi:[0,0,1] neg_lo:[1,0,0] neg_hi:[1,0,0]
	v_pk_fma_f32 v[74:75], v[76:77], s[10:11], v[34:35] op_sel:[1,0,0] op_sel_hi:[0,0,1] neg_lo:[1,0,0] neg_hi:[1,0,0]
	v_pk_fma_f32 v[34:35], v[76:77], s[10:11], v[34:35] op_sel:[1,0,0] op_sel_hi:[0,0,1]
	v_pk_fma_f32 v[92:93], v[88:89], s[6:7], v[64:65] op_sel:[1,0,0] op_sel_hi:[0,0,1] neg_lo:[1,0,0] neg_hi:[1,0,0]
	v_pk_fma_f32 v[78:79], v[88:89], s[6:7], v[78:79] op_sel:[1,0,0] op_sel_hi:[0,0,1]
	v_pk_fma_f32 v[66:67], v[84:85], 0.5, v[32:33] op_sel_hi:[1,0,1] neg_lo:[1,0,0] neg_hi:[1,0,0]
	v_pk_fma_f32 v[18:19], v[76:77], s[6:7], v[18:19] op_sel:[1,0,0] op_sel_hi:[0,0,1] neg_lo:[1,0,0] neg_hi:[1,0,0]
	v_pk_fma_f32 v[90:91], v[76:77], s[6:7], v[68:69] op_sel:[1,0,0] op_sel_hi:[0,0,1]
	v_pk_fma_f32 v[76:77], v[20:21], s[6:7], v[34:35] op_sel:[1,0,0] op_sel_hi:[0,0,1] neg_lo:[1,0,0] neg_hi:[1,0,0]
	v_mov_b32_e32 v34, v78
	v_mov_b32_e32 v35, v93
	v_pk_fma_f32 v[84:85], v[88:89], s[10:11], v[66:67] op_sel:[1,0,0] op_sel_hi:[0,0,1] neg_lo:[1,0,0] neg_hi:[1,0,0]
	v_pk_fma_f32 v[66:67], v[88:89], s[10:11], v[66:67] op_sel:[1,0,0] op_sel_hi:[0,0,1]
	v_pk_fma_f32 v[64:65], v[54:55], s[14:15], v[34:35] op_sel_hi:[1,0,1]
	v_pk_fma_f32 v[20:21], v[20:21], s[6:7], v[74:75] op_sel:[1,0,0] op_sel_hi:[0,0,1]
	v_pk_fma_f32 v[74:75], v[86:87], s[6:7], v[66:67] op_sel:[1,0,0] op_sel_hi:[0,0,1] neg_lo:[1,0,0] neg_hi:[1,0,0]
	v_pk_mul_f32 v[66:67], v[64:65], s[6:7] op_sel_hi:[1,0]
	v_pk_fma_f32 v[84:85], v[86:87], s[6:7], v[84:85] op_sel:[1,0,0] op_sel_hi:[0,0,1]
	v_pk_fma_f32 v[34:35], v[64:65], s[12:13], v[66:67] op_sel:[0,0,1] op_sel_hi:[1,0,0]
	v_pk_fma_f32 v[64:65], v[64:65], s[12:13], v[66:67] op_sel:[0,0,1] op_sel_hi:[1,0,0] neg_lo:[0,0,1] neg_hi:[0,0,1]
	v_mov_b32_e32 v93, v79
	v_mov_b32_e32 v35, v65
	v_mov_b32_e32 v64, v84
	v_mov_b32_e32 v65, v75
	v_pk_fma_f32 v[66:67], v[72:73], s[14:15], v[64:65] op_sel_hi:[1,0,1]
	v_mov_b32_e32 v75, v85
	v_pk_mul_f32 v[68:69], v[66:67], s[10:11] op_sel_hi:[1,0]
	s_mov_b32 s10, 0xbf167918
	v_pk_fma_f32 v[64:65], v[66:67], s[14:15], v[68:69] op_sel:[0,0,1] op_sel_hi:[1,0,0]
	v_pk_fma_f32 v[66:67], v[66:67], s[14:15], v[68:69] op_sel:[0,0,1] op_sel_hi:[1,0,0] neg_lo:[0,0,1] neg_hi:[0,0,1]
	s_mov_b32 s11, s6
	v_mov_b32_e32 v65, v67
	v_mov_b32_e32 v66, v20
	;; [unrolled: 1-line block ×4, first 2 shown]
	v_pk_fma_f32 v[20:21], v[72:73], s[14:15], v[74:75] op_sel_hi:[1,0,1]
	v_pk_fma_f32 v[68:69], v[70:71], s[14:15], v[66:67] op_sel_hi:[1,0,1]
	;; [unrolled: 1-line block ×3, first 2 shown]
	v_pk_mul_f32 v[70:71], v[20:21], s[14:15] op_sel_hi:[1,0]
	s_nop 0
	v_pk_fma_f32 v[76:77], v[20:21], s[16:17], v[70:71] op_sel:[0,0,1] op_sel_hi:[1,1,0] neg_lo:[0,0,1] neg_hi:[0,0,1]
	v_mov_b32_e32 v21, v19
	v_mov_b32_e32 v19, v91
	;; [unrolled: 1-line block ×3, first 2 shown]
	v_pk_fma_f32 v[72:73], v[24:25], s[14:15], v[18:19] op_sel_hi:[1,0,1]
	v_pk_fma_f32 v[18:19], v[54:55], s[14:15], v[92:93] op_sel_hi:[1,0,1]
	;; [unrolled: 1-line block ×3, first 2 shown]
	v_pk_mul_f32 v[20:21], v[18:19], s[12:13] op_sel_hi:[1,0]
	v_lshl_add_u64 v[70:71], s[4:5], 0, v[36:37]
	v_pk_fma_f32 v[78:79], v[18:19], s[10:11], v[20:21] op_sel:[0,0,1] op_sel_hi:[1,1,0] neg_lo:[0,0,1] neg_hi:[0,0,1]
	v_pk_add_f32 v[18:19], v[68:69], v[64:65] neg_lo:[0,1] neg_hi:[0,1]
	v_pk_add_f32 v[20:21], v[66:67], v[76:77] op_sel:[0,1] op_sel_hi:[1,0] neg_lo:[0,1] neg_hi:[0,1]
	v_pk_add_f32 v[54:55], v[72:73], v[78:79] op_sel:[0,1] op_sel_hi:[1,0] neg_lo:[0,1] neg_hi:[0,1]
	v_pk_add_f32 v[24:25], v[74:75], v[34:35] neg_lo:[0,1] neg_hi:[0,1]
	s_and_saveexec_b64 s[6:7], vcc
	s_cbranch_execz .LBB0_5
; %bb.4:
	v_pk_add_f32 v[16:17], v[16:17], v[58:59]
	v_mov_b32_e32 v84, v77
	v_pk_add_f32 v[16:17], v[16:17], v[60:61]
	v_mov_b32_e32 v85, v76
	;; [unrolled: 2-line block ×3, first 2 shown]
	v_pk_add_f32 v[16:17], v[16:17], v[30:31]
	v_pk_add_f32 v[30:31], v[32:33], v[56:57]
	v_mov_b32_e32 v77, v78
	v_pk_add_f32 v[22:23], v[30:31], v[22:23]
	v_lshl_add_u32 v32, v45, 3, v82
	v_pk_add_f32 v[22:23], v[22:23], v[26:27]
	v_pk_add_f32 v[30:31], v[68:69], v[64:65]
	;; [unrolled: 1-line block ×5, first 2 shown]
	ds_write2_b64 v32, v[28:29], v[30:31] offset0:6 offset1:12
	v_pk_add_f32 v[28:29], v[66:67], v[84:85]
	v_pk_add_f32 v[30:31], v[72:73], v[76:77]
	v_pk_add_f32 v[16:17], v[16:17], v[22:23] neg_lo:[0,1] neg_hi:[0,1]
	ds_write2_b64 v32, v[28:29], v[30:31] offset0:18 offset1:24
	ds_write2_b64 v80, v[26:27], v[16:17] offset1:30
	ds_write2_b64 v32, v[24:25], v[18:19] offset0:36 offset1:42
	ds_write2_b64 v32, v[20:21], v[54:55] offset0:48 offset1:54
.LBB0_5:
	s_or_b64 exec, exec, s[6:7]
	s_waitcnt lgkmcnt(0)
	; wave barrier
	s_waitcnt lgkmcnt(0)
	global_load_dwordx2 v[22:23], v[70:71], off offset:480
	s_add_u32 s4, s4, 0x1e0
	s_addc_u32 s5, s5, 0
	global_load_dwordx2 v[30:31], v36, s[4:5] offset:80
	global_load_dwordx2 v[32:33], v36, s[4:5] offset:160
	;; [unrolled: 1-line block ×5, first 2 shown]
	ds_read2_b64 v[26:29], v80 offset1:10
	v_lshl_add_u32 v16, v45, 3, v82
	s_mov_b32 s6, 0x3f5db3d7
	s_mov_b32 s10, 0.5
	s_mov_b32 s11, s6
	s_mov_b32 s4, -0.5
	s_mov_b32 s5, s6
	s_waitcnt vmcnt(5) lgkmcnt(0)
	v_mul_f32_e32 v17, v27, v23
	v_mul_f32_e32 v37, v26, v23
	v_fma_f32 v36, v26, v22, -v17
	s_waitcnt vmcnt(4)
	v_mul_f32_e32 v17, v29, v31
	v_mul_f32_e32 v23, v28, v31
	v_fmac_f32_e32 v37, v27, v22
	v_fma_f32 v22, v28, v30, -v17
	v_fmac_f32_e32 v23, v29, v30
	ds_write2_b64 v80, v[36:37], v[22:23] offset1:10
	ds_read2_b64 v[26:29], v80 offset0:20 offset1:40
	ds_read_b64 v[22:23], v16 offset:240
	ds_read_b64 v[30:31], v80 offset:400
	s_waitcnt vmcnt(3) lgkmcnt(2)
	v_mul_f32_e32 v17, v27, v33
	v_mul_f32_e32 v37, v26, v33
	s_waitcnt vmcnt(2) lgkmcnt(1)
	v_mul_f32_e32 v60, v23, v35
	v_mul_f32_e32 v33, v22, v35
	s_waitcnt vmcnt(1)
	v_mul_f32_e32 v61, v29, v57
	v_mul_f32_e32 v35, v28, v57
	s_waitcnt vmcnt(0) lgkmcnt(0)
	v_mul_f32_e32 v62, v31, v59
	v_mul_f32_e32 v57, v30, v59
	v_fma_f32 v36, v26, v32, -v17
	v_fmac_f32_e32 v37, v27, v32
	v_fma_f32 v32, v22, v34, -v60
	v_fmac_f32_e32 v33, v23, v34
	;; [unrolled: 2-line block ×4, first 2 shown]
	ds_write_b64 v16, v[32:33] offset:240
	ds_write2_b64 v80, v[36:37], v[34:35] offset0:20 offset1:40
	ds_write_b64 v80, v[56:57] offset:400
	s_waitcnt lgkmcnt(0)
	; wave barrier
	s_waitcnt lgkmcnt(0)
	ds_read2_b64 v[26:29], v80 offset1:10
	ds_read2_b64 v[30:33], v80 offset0:20 offset1:40
	ds_read_b64 v[22:23], v16 offset:240
	ds_read_b64 v[34:35], v80 offset:400
	s_waitcnt lgkmcnt(0)
	; wave barrier
	s_waitcnt lgkmcnt(0)
	v_pk_add_f32 v[36:37], v[26:27], v[30:31]
	v_pk_add_f32 v[60:61], v[30:31], v[32:33]
	v_pk_add_f32 v[56:57], v[22:23], v[34:35]
	v_pk_add_f32 v[58:59], v[22:23], v[34:35] neg_lo:[0,1] neg_hi:[0,1]
	v_pk_add_f32 v[22:23], v[28:29], v[22:23]
	v_pk_add_f32 v[30:31], v[30:31], v[32:33] neg_lo:[0,1] neg_hi:[0,1]
	v_pk_add_f32 v[22:23], v[22:23], v[34:35]
	v_fma_f32 v34, -0.5, v57, v29
	v_pk_add_f32 v[32:33], v[36:37], v[32:33]
	v_fma_f32 v28, -0.5, v56, v28
	v_pk_fma_f32 v[36:37], -0.5, v[60:61], v[26:27] op_sel_hi:[0,1,1]
	v_pk_mul_f32 v[30:31], v[30:31], s[6:7] op_sel_hi:[1,0]
	s_mov_b32 s7, s10
	v_fmamk_f32 v60, v58, 0x3f5db3d7, v34
	v_fmamk_f32 v56, v59, 0xbf5db3d7, v28
	v_fmac_f32_e32 v28, 0x3f5db3d7, v59
	v_fmac_f32_e32 v34, 0xbf5db3d7, v58
	v_pk_add_f32 v[58:59], v[36:37], v[30:31] op_sel:[0,1] op_sel_hi:[1,0] neg_lo:[0,1] neg_hi:[0,1]
	v_pk_add_f32 v[36:37], v[36:37], v[30:31] op_sel:[0,1] op_sel_hi:[1,0]
	v_pk_mul_f32 v[30:31], v[60:61], s[6:7] op_sel_hi:[0,1]
	v_pk_add_f32 v[26:27], v[32:33], v[22:23]
	v_pk_add_f32 v[32:33], v[32:33], v[22:23] neg_lo:[0,1] neg_hi:[0,1]
	v_mov_b32_e32 v22, v58
	v_mov_b32_e32 v23, v37
	;; [unrolled: 1-line block ×3, first 2 shown]
	v_pk_mul_f32 v[34:35], v[34:35], s[6:7] op_sel_hi:[0,1]
	v_pk_fma_f32 v[58:59], v[56:57], s[10:11], v[30:31] neg_lo:[0,0,1] neg_hi:[0,0,1]
	v_pk_fma_f32 v[30:31], v[56:57], s[10:11], v[30:31] op_sel_hi:[0,1,1]
	v_pk_fma_f32 v[28:29], v[28:29], s[4:5], v[34:35] op_sel_hi:[0,1,1] neg_lo:[0,0,1] neg_hi:[0,0,1]
	v_mov_b32_e32 v59, v31
	v_pk_add_f32 v[30:31], v[36:37], v[28:29]
	v_pk_add_f32 v[36:37], v[36:37], v[28:29] neg_lo:[0,1] neg_hi:[0,1]
	v_pk_add_f32 v[28:29], v[22:23], v[58:59]
	v_pk_add_f32 v[34:35], v[22:23], v[58:59] neg_lo:[0,1] neg_hi:[0,1]
	ds_write_b128 v81, v[30:33] offset:16
	ds_write_b128 v81, v[26:29]
	ds_write_b128 v81, v[34:37] offset:32
	s_waitcnt lgkmcnt(0)
	; wave barrier
	s_waitcnt lgkmcnt(0)
	s_and_saveexec_b64 s[4:5], vcc
	s_cbranch_execz .LBB0_7
; %bb.6:
	ds_read2_b64 v[26:29], v80 offset1:6
	ds_read2_b64 v[30:33], v80 offset0:12 offset1:18
	ds_read2_b64 v[22:25], v80 offset0:24 offset1:36
	;; [unrolled: 1-line block ×3, first 2 shown]
	ds_read_b64 v[36:37], v16 offset:240
	ds_read_b64 v[54:55], v80 offset:432
	s_waitcnt lgkmcnt(3)
	v_mov_b64_e32 v[34:35], v[22:23]
.LBB0_7:
	s_or_b64 exec, exec, s[4:5]
	s_and_saveexec_b64 s[4:5], vcc
	s_cbranch_execz .LBB0_9
; %bb.8:
	v_pk_mul_f32 v[22:23], v[2:3], v[30:31] op_sel:[0,1]
	v_pk_mul_f32 v[56:57], v[10:11], v[34:35] op_sel:[0,1]
	v_pk_fma_f32 v[72:73], v[2:3], v[30:31], v[22:23] op_sel:[0,0,1] op_sel_hi:[1,1,0]
	v_pk_fma_f32 v[2:3], v[2:3], v[30:31], v[22:23] op_sel:[0,0,1] op_sel_hi:[1,0,0] neg_lo:[1,0,0] neg_hi:[1,0,0]
	s_waitcnt lgkmcnt(2)
	v_pk_mul_f32 v[58:59], v[14:15], v[20:21] op_sel:[0,1]
	v_mov_b32_e32 v73, v3
	v_pk_fma_f32 v[2:3], v[10:11], v[34:35], v[56:57] op_sel:[0,0,1] op_sel_hi:[1,1,0]
	v_pk_fma_f32 v[10:11], v[10:11], v[34:35], v[56:57] op_sel:[0,0,1] op_sel_hi:[1,0,0] neg_lo:[1,0,0] neg_hi:[1,0,0]
	v_pk_mul_f32 v[60:61], v[6:7], v[24:25] op_sel:[0,1]
	v_mov_b32_e32 v3, v11
	v_pk_fma_f32 v[10:11], v[14:15], v[20:21], v[58:59] op_sel:[0,0,1] op_sel_hi:[1,1,0]
	v_pk_fma_f32 v[14:15], v[14:15], v[20:21], v[58:59] op_sel:[0,0,1] op_sel_hi:[1,0,0] neg_lo:[1,0,0] neg_hi:[1,0,0]
	v_pk_mul_f32 v[62:63], v[8:9], v[32:33] op_sel:[0,1]
	s_waitcnt lgkmcnt(1)
	v_pk_mul_f32 v[64:65], v[4:5], v[36:37] op_sel:[0,1]
	s_waitcnt lgkmcnt(0)
	v_pk_mul_f32 v[66:67], v[52:53], v[54:55] op_sel:[0,1]
	v_pk_mul_f32 v[68:69], v[12:13], v[18:19] op_sel:[0,1]
	v_mov_b32_e32 v11, v15
	v_pk_fma_f32 v[14:15], v[6:7], v[24:25], v[60:61] op_sel:[0,0,1] op_sel_hi:[1,1,0]
	v_pk_fma_f32 v[6:7], v[6:7], v[24:25], v[60:61] op_sel:[0,0,1] op_sel_hi:[1,0,0] neg_lo:[1,0,0] neg_hi:[1,0,0]
	v_pk_fma_f32 v[20:21], v[4:5], v[36:37], v[64:65] op_sel:[0,0,1] op_sel_hi:[1,1,0]
	v_mov_b32_e32 v15, v7
	v_pk_fma_f32 v[6:7], v[8:9], v[32:33], v[62:63] op_sel:[0,0,1] op_sel_hi:[1,1,0]
	v_pk_fma_f32 v[22:23], v[52:53], v[54:55], v[66:67] op_sel:[0,0,1] op_sel_hi:[1,1,0]
	;; [unrolled: 1-line block ×3, first 2 shown]
	v_pk_fma_f32 v[8:9], v[8:9], v[32:33], v[62:63] op_sel:[0,0,1] op_sel_hi:[1,0,0] neg_lo:[1,0,0] neg_hi:[1,0,0]
	v_pk_fma_f32 v[12:13], v[12:13], v[18:19], v[68:69] op_sel:[0,0,1] op_sel_hi:[1,0,0] neg_lo:[1,0,0] neg_hi:[1,0,0]
	v_mov_b32_e32 v18, v6
	v_mov_b32_e32 v19, v22
	;; [unrolled: 1-line block ×4, first 2 shown]
	v_pk_fma_f32 v[4:5], v[4:5], v[36:37], v[64:65] op_sel:[0,0,1] op_sel_hi:[1,0,0] neg_lo:[1,0,0] neg_hi:[1,0,0]
	v_pk_fma_f32 v[24:25], v[52:53], v[54:55], v[66:67] op_sel:[0,0,1] op_sel_hi:[1,0,0] neg_lo:[1,0,0] neg_hi:[1,0,0]
	v_pk_add_f32 v[34:35], v[18:19], v[32:33] neg_lo:[0,1] neg_hi:[0,1]
	v_mov_b32_e32 v24, v9
	v_mov_b32_e32 v4, v35
	;; [unrolled: 1-line block ×3, first 2 shown]
	v_pk_mul_f32 v[70:71], v[0:1], v[28:29] op_sel:[0,1]
	v_mov_b32_e32 v21, v5
	v_mov_b32_e32 v31, v13
	v_pk_add_f32 v[34:35], v[34:35], v[4:5]
	v_pk_add_f32 v[4:5], v[24:25], v[12:13] neg_lo:[0,1] neg_hi:[0,1]
	v_pk_add_f32 v[18:19], v[32:33], v[18:19] neg_lo:[0,1] neg_hi:[0,1]
	;; [unrolled: 1-line block ×3, first 2 shown]
	v_mov_b32_e32 v7, v9
	v_mov_b32_e32 v23, v25
	v_pk_add_f32 v[36:37], v[20:21], v[30:31]
	v_pk_fma_f32 v[52:53], v[0:1], v[28:29], v[70:71] op_sel:[0,0,1] op_sel_hi:[1,0,0]
	v_pk_fma_f32 v[0:1], v[0:1], v[28:29], v[70:71] op_sel:[0,0,1] op_sel_hi:[1,0,0] neg_lo:[1,0,0] neg_hi:[1,0,0]
	v_mov_b32_e32 v8, v5
	v_mov_b32_e32 v32, v19
	;; [unrolled: 1-line block ×4, first 2 shown]
	v_fma_f32 v17, -0.5, v36, v52
	v_pk_add_f32 v[28:29], v[6:7], v[22:23] neg_lo:[0,1] neg_hi:[0,1]
	v_pk_add_f32 v[4:5], v[4:5], v[8:9]
	v_fma_f32 v9, -0.5, v37, v1
	v_pk_add_f32 v[18:19], v[18:19], v[32:33]
	v_pk_add_f32 v[12:13], v[12:13], v[24:25]
	v_fmamk_f32 v0, v29, 0x3f737871, v17
	s_mov_b32 s6, 0x3e9e377a
	v_fmamk_f32 v8, v28, 0xbf737871, v9
	v_mov_b32_e32 v19, v29
	v_pk_add_f32 v[32:33], v[6:7], v[22:23]
	v_mov_b32_e32 v13, v28
	v_fmac_f32_e32 v17, 0xbf737871, v29
	v_fmac_f32_e32 v9, 0x3f737871, v28
	v_pk_add_f32 v[28:29], v[26:27], v[72:73]
	v_pk_add_f32 v[6:7], v[52:53], v[6:7]
	v_pk_add_f32 v[54:55], v[20:21], v[30:31] neg_lo:[0,1] neg_hi:[0,1]
	s_mov_b32 s7, 0x3f167918
	v_fmac_f32_e32 v1, -0.5, v33
	v_pk_add_f32 v[28:29], v[28:29], v[2:3]
	v_pk_add_f32 v[6:7], v[6:7], v[20:21]
	v_mov_b32_e32 v35, v55
	v_fmamk_f32 v24, v54, 0x3f737871, v1
	v_pk_mul_f32 v[12:13], v[12:13], s[6:7]
	v_fmac_f32_e32 v1, 0xbf737871, v54
	v_pk_add_f32 v[28:29], v[28:29], v[14:15]
	v_pk_add_f32 v[6:7], v[6:7], v[30:31]
	v_pk_mul_f32 v[34:35], v[34:35], s[6:7]
	v_mov_b32_e32 v5, v54
	v_mov_b32_e32 v36, v52
	v_sub_f32_e32 v24, v24, v13
	v_add_f32_e32 v1, v13, v1
	v_pk_add_f32 v[28:29], v[28:29], v[10:11]
	v_pk_add_f32 v[6:7], v[6:7], v[22:23]
	v_add_f32_e32 v0, v35, v0
	v_pk_mul_f32 v[4:5], v[4:5], s[6:7]
	v_fmac_f32_e32 v36, -0.5, v32
	v_add_f32_e32 v24, v12, v24
	v_add_f32_e32 v12, v12, v1
	v_sub_f32_e32 v1, v17, v35
	v_pk_add_f32 v[20:21], v[28:29], v[6:7]
	s_mov_b32 s10, 0x3f737871
	v_add_f32_e32 v0, v34, v0
	v_sub_f32_e32 v8, v8, v5
	v_pk_mul_f32 v[18:19], v[18:19], s[6:7]
	v_fmamk_f32 v32, v55, 0xbf737871, v36
	v_fmac_f32_e32 v36, 0x3f737871, v55
	v_add_f32_e32 v34, v34, v1
	v_add_f32_e32 v1, v5, v9
	ds_write_b64 v80, v[20:21]
	v_pk_add_f32 v[20:21], v[2:3], v[14:15]
	v_pk_add_f32 v[22:23], v[72:73], v[10:11] neg_lo:[0,1] neg_hi:[0,1]
	s_mov_b32 s14, 0x3f4f1bbd
	v_add_f32_e32 v8, v4, v8
	v_add_f32_e32 v32, v19, v32
	v_sub_f32_e32 v19, v36, v19
	v_add_f32_e32 v4, v4, v1
	v_pk_fma_f32 v[20:21], v[20:21], 0.5, v[26:27] op_sel_hi:[1,0,1] neg_lo:[1,0,0] neg_hi:[1,0,0]
	v_pk_mul_f32 v[30:31], v[22:23], s[10:11] op_sel_hi:[1,0]
	v_pk_add_f32 v[36:37], v[2:3], v[14:15] neg_lo:[0,1] neg_hi:[0,1]
	s_mov_b32 s12, s7
	v_pk_add_f32 v[54:55], v[72:73], v[2:3] neg_lo:[0,1] neg_hi:[0,1]
	v_pk_add_f32 v[56:57], v[10:11], v[14:15] neg_lo:[0,1] neg_hi:[0,1]
	s_mov_b32 s16, s7
	s_mov_b32 s17, s14
	v_pk_mul_f32 v[52:53], v[36:37], s[12:13] op_sel_hi:[1,0]
	v_pk_add_f32 v[54:55], v[54:55], v[56:57]
	v_pk_add_f32 v[56:57], v[20:21], v[30:31] op_sel:[0,1] op_sel_hi:[1,0] neg_lo:[0,1] neg_hi:[0,1]
	s_mov_b32 s15, s7
	v_pk_mul_f32 v[4:5], v[4:5], s[16:17] op_sel_hi:[0,1]
	s_mov_b32 s11, s6
	v_add_f32_e32 v32, v18, v32
	v_add_f32_e32 v18, v18, v19
	v_pk_add_f32 v[20:21], v[20:21], v[30:31] op_sel:[0,1] op_sel_hi:[1,0]
	v_pk_add_f32 v[30:31], v[56:57], v[52:53] op_sel:[0,1] op_sel_hi:[1,0] neg_lo:[0,1] neg_hi:[0,1]
	v_pk_fma_f32 v[56:57], v[34:35], s[14:15], v[4:5] neg_lo:[0,0,1] neg_hi:[0,0,1]
	v_pk_fma_f32 v[4:5], v[34:35], s[14:15], v[4:5] op_sel_hi:[0,1,1]
	v_pk_add_f32 v[2:3], v[2:3], v[72:73] neg_lo:[0,1] neg_hi:[0,1]
	v_pk_add_f32 v[14:15], v[14:15], v[10:11] neg_lo:[0,1] neg_hi:[0,1]
	s_mov_b32 s14, s6
	s_mov_b32 s15, s10
	v_pk_mul_f32 v[12:13], v[12:13], s[10:11] op_sel_hi:[0,1]
	v_pk_add_f32 v[2:3], v[2:3], v[14:15]
	v_pk_add_f32 v[10:11], v[72:73], v[10:11]
	v_pk_fma_f32 v[14:15], v[18:19], s[14:15], v[12:13] neg_lo:[0,0,1] neg_hi:[0,0,1]
	v_pk_fma_f32 v[12:13], v[18:19], s[14:15], v[12:13] op_sel_hi:[0,1,1]
	v_pk_fma_f32 v[10:11], v[10:11], 0.5, v[26:27] op_sel_hi:[1,0,1] neg_lo:[1,0,0] neg_hi:[1,0,0]
	v_mov_b32_e32 v15, v13
	v_pk_mul_f32 v[12:13], v[36:37], s[10:11] op_sel_hi:[1,0]
	v_pk_mul_f32 v[18:19], v[22:23], s[12:13] op_sel_hi:[1,0]
	v_pk_add_f32 v[22:23], v[10:11], v[12:13] op_sel:[0,1] op_sel_hi:[1,0]
	v_pk_add_f32 v[10:11], v[10:11], v[12:13] op_sel:[0,1] op_sel_hi:[1,0] neg_lo:[0,1] neg_hi:[0,1]
	v_pk_add_f32 v[20:21], v[20:21], v[52:53] op_sel:[0,1] op_sel_hi:[1,0]
	v_pk_add_f32 v[10:11], v[10:11], v[18:19] op_sel:[0,1] op_sel_hi:[1,0]
	v_pk_add_f32 v[12:13], v[22:23], v[18:19] op_sel:[0,1] op_sel_hi:[1,0] neg_lo:[0,1] neg_hi:[0,1]
	v_mov_b32_e32 v52, v30
	v_mov_b32_e32 v53, v21
	;; [unrolled: 1-line block ×4, first 2 shown]
	v_pk_fma_f32 v[52:53], v[54:55], s[6:7], v[52:53] op_sel_hi:[1,0,1]
	v_mov_b32_e32 v57, v5
	v_pk_fma_f32 v[18:19], v[2:3], s[6:7], v[18:19] op_sel_hi:[1,0,1]
	v_pk_add_f32 v[4:5], v[52:53], v[56:57]
	v_pk_add_f32 v[22:23], v[18:19], v[14:15]
	ds_write2_b64 v16, v[4:5], v[22:23] offset0:6 offset1:12
	s_mov_b32 s12, 0xbe9e377a
	s_mov_b32 s13, s10
	v_pk_mul_f32 v[4:5], v[24:25], s[10:11] op_sel_hi:[0,1]
	v_mov_b32_e32 v11, v13
	s_mov_b32 s10, 0xbf4f1bbd
	s_mov_b32 s11, s7
	v_pk_mul_f32 v[8:9], v[8:9], s[16:17] op_sel_hi:[0,1]
	v_mov_b32_e32 v21, v31
	v_pk_fma_f32 v[4:5], v[32:33], s[12:13], v[4:5] op_sel_hi:[0,1,1] neg_lo:[0,0,1] neg_hi:[0,0,1]
	v_pk_fma_f32 v[2:3], v[2:3], s[6:7], v[10:11] op_sel_hi:[1,0,1]
	v_pk_fma_f32 v[0:1], v[0:1], s[10:11], v[8:9] op_sel_hi:[0,1,1] neg_lo:[0,0,1] neg_hi:[0,0,1]
	v_pk_fma_f32 v[8:9], v[54:55], s[6:7], v[20:21] op_sel_hi:[1,0,1]
	v_pk_add_f32 v[10:11], v[2:3], v[4:5]
	v_pk_add_f32 v[14:15], v[18:19], v[14:15] neg_lo:[0,1] neg_hi:[0,1]
	v_pk_add_f32 v[18:19], v[8:9], v[0:1] neg_lo:[0,1] neg_hi:[0,1]
	v_pk_add_f32 v[0:1], v[8:9], v[0:1]
	v_pk_add_f32 v[6:7], v[28:29], v[6:7] neg_lo:[0,1] neg_hi:[0,1]
	v_pk_add_f32 v[12:13], v[52:53], v[56:57] neg_lo:[0,1] neg_hi:[0,1]
	ds_write2_b64 v16, v[10:11], v[0:1] offset0:18 offset1:24
	ds_write_b64 v16, v[6:7] offset:240
	ds_write2_b64 v16, v[12:13], v[14:15] offset0:36 offset1:42
	v_pk_add_f32 v[0:1], v[2:3], v[4:5] neg_lo:[0,1] neg_hi:[0,1]
	ds_write2_b64 v16, v[0:1], v[18:19] offset0:48 offset1:54
.LBB0_9:
	s_or_b64 exec, exec, s[4:5]
	s_waitcnt lgkmcnt(0)
	; wave barrier
	s_waitcnt lgkmcnt(0)
	ds_read2_b64 v[0:3], v80 offset1:10
	v_mad_u64_u32 v[6:7], s[4:5], s2, v44, 0
	v_mov_b32_e32 v8, v7
	v_mad_u64_u32 v[8:9], s[2:3], s3, v44, v[8:9]
	v_mov_b32_e32 v7, v8
	s_waitcnt lgkmcnt(0)
	v_mul_f32_e32 v8, v51, v1
	v_fmac_f32_e32 v8, v50, v0
	v_mul_f32_e32 v0, v51, v0
	s_mov_b32 s2, 0x11111111
	v_fma_f32 v0, v50, v1, -v0
	v_cvt_f64_f32_e32 v[8:9], v8
	s_mov_b32 s3, 0x3f911111
	v_cvt_f64_f32_e32 v[0:1], v0
	v_mul_f64 v[8:9], v[8:9], s[2:3]
	v_mul_f64 v[0:1], v[0:1], s[2:3]
	v_cvt_f32_f64_e32 v8, v[8:9]
	v_cvt_f32_f64_e32 v9, v[0:1]
	v_mad_u64_u32 v[0:1], s[4:5], s0, v45, 0
	v_mov_b32_e32 v10, v1
	v_mov_b32_e32 v4, s8
	;; [unrolled: 1-line block ×3, first 2 shown]
	v_mad_u64_u32 v[10:11], s[4:5], s1, v45, v[10:11]
	v_mov_b32_e32 v1, v10
	v_lshl_add_u64 v[4:5], v[6:7], 3, v[4:5]
	v_lshl_add_u64 v[4:5], v[0:1], 3, v[4:5]
	v_mul_f32_e32 v0, v49, v3
	v_fmac_f32_e32 v0, v48, v2
	v_cvt_f64_f32_e32 v[0:1], v0
	v_mul_f64 v[0:1], v[0:1], s[2:3]
	v_cvt_f32_f64_e32 v6, v[0:1]
	v_mul_f32_e32 v0, v49, v2
	v_fma_f32 v0, v48, v3, -v0
	v_cvt_f64_f32_e32 v[0:1], v0
	v_mul_f64 v[0:1], v[0:1], s[2:3]
	v_cvt_f32_f64_e32 v7, v[0:1]
	ds_read2_b64 v[0:3], v80 offset0:20 offset1:40
	v_mov_b32_e32 v10, 0x50
	global_store_dwordx2 v[4:5], v[8:9], off
	v_mad_u64_u32 v[4:5], s[4:5], s0, v10, v[4:5]
	s_mul_i32 s6, s1, 0x50
	v_add_u32_e32 v5, s6, v5
	global_store_dwordx2 v[4:5], v[6:7], off
	s_waitcnt lgkmcnt(0)
	v_mul_f32_e32 v6, v47, v1
	v_fmac_f32_e32 v6, v46, v0
	v_mul_f32_e32 v0, v47, v0
	v_fma_f32 v0, v46, v1, -v0
	v_cvt_f64_f32_e32 v[6:7], v6
	v_cvt_f64_f32_e32 v[0:1], v0
	v_mul_f64 v[6:7], v[6:7], s[2:3]
	v_mul_f64 v[0:1], v[0:1], s[2:3]
	v_cvt_f32_f64_e32 v6, v[6:7]
	v_cvt_f32_f64_e32 v7, v[0:1]
	ds_read_b64 v[0:1], v16 offset:240
	v_mad_u64_u32 v[4:5], s[4:5], s0, v10, v[4:5]
	v_add_u32_e32 v5, s6, v5
	global_store_dwordx2 v[4:5], v[6:7], off
	ds_read_b64 v[6:7], v80 offset:400
	s_waitcnt lgkmcnt(1)
	v_mul_f32_e32 v8, v39, v1
	v_fmac_f32_e32 v8, v38, v0
	v_mul_f32_e32 v0, v39, v0
	v_fma_f32 v0, v38, v1, -v0
	v_cvt_f64_f32_e32 v[8:9], v8
	v_cvt_f64_f32_e32 v[0:1], v0
	v_mul_f64 v[8:9], v[8:9], s[2:3]
	v_mul_f64 v[0:1], v[0:1], s[2:3]
	v_cvt_f32_f64_e32 v8, v[8:9]
	v_cvt_f32_f64_e32 v9, v[0:1]
	v_mad_u64_u32 v[0:1], s[4:5], s0, v10, v[4:5]
	v_mul_f32_e32 v4, v43, v3
	v_fmac_f32_e32 v4, v42, v2
	v_mul_f32_e32 v2, v43, v2
	v_fma_f32 v2, v42, v3, -v2
	v_cvt_f64_f32_e32 v[4:5], v4
	v_cvt_f64_f32_e32 v[2:3], v2
	v_mul_f64 v[4:5], v[4:5], s[2:3]
	v_mul_f64 v[2:3], v[2:3], s[2:3]
	v_cvt_f32_f64_e32 v4, v[4:5]
	v_cvt_f32_f64_e32 v5, v[2:3]
	s_waitcnt lgkmcnt(0)
	v_mul_f32_e32 v2, v41, v7
	v_fmac_f32_e32 v2, v40, v6
	v_cvt_f64_f32_e32 v[2:3], v2
	v_add_u32_e32 v1, s6, v1
	v_mul_f64 v[2:3], v[2:3], s[2:3]
	global_store_dwordx2 v[0:1], v[8:9], off
	v_mad_u64_u32 v[0:1], s[4:5], s0, v10, v[0:1]
	v_cvt_f32_f64_e32 v2, v[2:3]
	v_mul_f32_e32 v3, v41, v6
	v_add_u32_e32 v1, s6, v1
	v_fma_f32 v3, v40, v7, -v3
	global_store_dwordx2 v[0:1], v[4:5], off
	v_cvt_f64_f32_e32 v[4:5], v3
	v_mul_f64 v[4:5], v[4:5], s[2:3]
	v_mad_u64_u32 v[0:1], s[0:1], s0, v10, v[0:1]
	v_cvt_f32_f64_e32 v3, v[4:5]
	v_add_u32_e32 v1, s6, v1
	global_store_dwordx2 v[0:1], v[2:3], off
.LBB0_10:
	s_endpgm
	.section	.rodata,"a",@progbits
	.p2align	6, 0x0
	.amdhsa_kernel bluestein_single_fwd_len60_dim1_sp_op_CI_CI
		.amdhsa_group_segment_fixed_size 2880
		.amdhsa_private_segment_fixed_size 0
		.amdhsa_kernarg_size 104
		.amdhsa_user_sgpr_count 2
		.amdhsa_user_sgpr_dispatch_ptr 0
		.amdhsa_user_sgpr_queue_ptr 0
		.amdhsa_user_sgpr_kernarg_segment_ptr 1
		.amdhsa_user_sgpr_dispatch_id 0
		.amdhsa_user_sgpr_kernarg_preload_length 0
		.amdhsa_user_sgpr_kernarg_preload_offset 0
		.amdhsa_user_sgpr_private_segment_size 0
		.amdhsa_uses_dynamic_stack 0
		.amdhsa_enable_private_segment 0
		.amdhsa_system_sgpr_workgroup_id_x 1
		.amdhsa_system_sgpr_workgroup_id_y 0
		.amdhsa_system_sgpr_workgroup_id_z 0
		.amdhsa_system_sgpr_workgroup_info 0
		.amdhsa_system_vgpr_workitem_id 0
		.amdhsa_next_free_vgpr 94
		.amdhsa_next_free_sgpr 20
		.amdhsa_accum_offset 96
		.amdhsa_reserve_vcc 1
		.amdhsa_float_round_mode_32 0
		.amdhsa_float_round_mode_16_64 0
		.amdhsa_float_denorm_mode_32 3
		.amdhsa_float_denorm_mode_16_64 3
		.amdhsa_dx10_clamp 1
		.amdhsa_ieee_mode 1
		.amdhsa_fp16_overflow 0
		.amdhsa_tg_split 0
		.amdhsa_exception_fp_ieee_invalid_op 0
		.amdhsa_exception_fp_denorm_src 0
		.amdhsa_exception_fp_ieee_div_zero 0
		.amdhsa_exception_fp_ieee_overflow 0
		.amdhsa_exception_fp_ieee_underflow 0
		.amdhsa_exception_fp_ieee_inexact 0
		.amdhsa_exception_int_div_zero 0
	.end_amdhsa_kernel
	.text
.Lfunc_end0:
	.size	bluestein_single_fwd_len60_dim1_sp_op_CI_CI, .Lfunc_end0-bluestein_single_fwd_len60_dim1_sp_op_CI_CI
                                        ; -- End function
	.section	.AMDGPU.csdata,"",@progbits
; Kernel info:
; codeLenInByte = 4668
; NumSgprs: 26
; NumVgprs: 94
; NumAgprs: 0
; TotalNumVgprs: 94
; ScratchSize: 0
; MemoryBound: 0
; FloatMode: 240
; IeeeMode: 1
; LDSByteSize: 2880 bytes/workgroup (compile time only)
; SGPRBlocks: 3
; VGPRBlocks: 11
; NumSGPRsForWavesPerEU: 26
; NumVGPRsForWavesPerEU: 94
; AccumOffset: 96
; Occupancy: 5
; WaveLimiterHint : 1
; COMPUTE_PGM_RSRC2:SCRATCH_EN: 0
; COMPUTE_PGM_RSRC2:USER_SGPR: 2
; COMPUTE_PGM_RSRC2:TRAP_HANDLER: 0
; COMPUTE_PGM_RSRC2:TGID_X_EN: 1
; COMPUTE_PGM_RSRC2:TGID_Y_EN: 0
; COMPUTE_PGM_RSRC2:TGID_Z_EN: 0
; COMPUTE_PGM_RSRC2:TIDIG_COMP_CNT: 0
; COMPUTE_PGM_RSRC3_GFX90A:ACCUM_OFFSET: 23
; COMPUTE_PGM_RSRC3_GFX90A:TG_SPLIT: 0
	.text
	.p2alignl 6, 3212836864
	.fill 256, 4, 3212836864
	.type	__hip_cuid_95dfaf66cafae33f,@object ; @__hip_cuid_95dfaf66cafae33f
	.section	.bss,"aw",@nobits
	.globl	__hip_cuid_95dfaf66cafae33f
__hip_cuid_95dfaf66cafae33f:
	.byte	0                               ; 0x0
	.size	__hip_cuid_95dfaf66cafae33f, 1

	.ident	"AMD clang version 19.0.0git (https://github.com/RadeonOpenCompute/llvm-project roc-6.4.0 25133 c7fe45cf4b819c5991fe208aaa96edf142730f1d)"
	.section	".note.GNU-stack","",@progbits
	.addrsig
	.addrsig_sym __hip_cuid_95dfaf66cafae33f
	.amdgpu_metadata
---
amdhsa.kernels:
  - .agpr_count:     0
    .args:
      - .actual_access:  read_only
        .address_space:  global
        .offset:         0
        .size:           8
        .value_kind:     global_buffer
      - .actual_access:  read_only
        .address_space:  global
        .offset:         8
        .size:           8
        .value_kind:     global_buffer
      - .actual_access:  read_only
        .address_space:  global
        .offset:         16
        .size:           8
        .value_kind:     global_buffer
      - .actual_access:  read_only
        .address_space:  global
        .offset:         24
        .size:           8
        .value_kind:     global_buffer
      - .actual_access:  read_only
        .address_space:  global
        .offset:         32
        .size:           8
        .value_kind:     global_buffer
      - .offset:         40
        .size:           8
        .value_kind:     by_value
      - .address_space:  global
        .offset:         48
        .size:           8
        .value_kind:     global_buffer
      - .address_space:  global
        .offset:         56
        .size:           8
        .value_kind:     global_buffer
      - .address_space:  global
        .offset:         64
        .size:           8
        .value_kind:     global_buffer
      - .address_space:  global
        .offset:         72
        .size:           8
        .value_kind:     global_buffer
      - .offset:         80
        .size:           4
        .value_kind:     by_value
      - .address_space:  global
        .offset:         88
        .size:           8
        .value_kind:     global_buffer
      - .address_space:  global
        .offset:         96
        .size:           8
        .value_kind:     global_buffer
    .group_segment_fixed_size: 2880
    .kernarg_segment_align: 8
    .kernarg_segment_size: 104
    .language:       OpenCL C
    .language_version:
      - 2
      - 0
    .max_flat_workgroup_size: 60
    .name:           bluestein_single_fwd_len60_dim1_sp_op_CI_CI
    .private_segment_fixed_size: 0
    .sgpr_count:     26
    .sgpr_spill_count: 0
    .symbol:         bluestein_single_fwd_len60_dim1_sp_op_CI_CI.kd
    .uniform_work_group_size: 1
    .uses_dynamic_stack: false
    .vgpr_count:     94
    .vgpr_spill_count: 0
    .wavefront_size: 64
amdhsa.target:   amdgcn-amd-amdhsa--gfx950
amdhsa.version:
  - 1
  - 2
...

	.end_amdgpu_metadata
